;; amdgpu-corpus repo=ROCm/bitsandbytes kind=harvested arch=n/a opt=n/a
	.text
	.amdgcn_target "amdgcn-amd-amdhsa--gfx942"
	.amdhsa_code_object_version 6
	.protected	_Z18kQuantizeBlockwiseI6__halfLi4096ELi4ELi0ELi0EEvPfPT_S1_PhS1_ii ; -- Begin function _Z18kQuantizeBlockwiseI6__halfLi4096ELi4ELi0ELi0EEvPfPT_S1_PhS1_ii
	.globl	_Z18kQuantizeBlockwiseI6__halfLi4096ELi4ELi0ELi0EEvPfPT_S1_PhS1_ii
	.p2align	8
	.type	_Z18kQuantizeBlockwiseI6__halfLi4096ELi4ELi0ELi0EEvPfPT_S1_PhS1_ii,@function
_Z18kQuantizeBlockwiseI6__halfLi4096ELi4ELi0ELi0EEvPfPT_S1_PhS1_ii: ; @_Z18kQuantizeBlockwiseI6__halfLi4096ELi4ELi0ELi0EEvPfPT_S1_PhS1_ii
; %bb.0:
	s_load_dword s3, s[0:1], 0x30
	s_add_u32 s4, s0, 48
	s_movk_i32 s10, 0x100
	s_addc_u32 s5, s1, 0
	v_cmp_gt_u32_e32 vcc, s10, v0
	s_and_saveexec_b64 s[6:7], vcc
	s_cbranch_execz .LBB96_13
; %bb.1:
	s_load_dword s4, s[4:5], 0xc
	s_waitcnt lgkmcnt(0)
	s_and_b32 s14, s4, 0xffff
	v_cvt_f32_u32_e32 v1, s14
	v_add_u32_e32 v2, s14, v0
	v_mov_b32_e32 v3, s14
	v_cmp_gt_u32_e32 vcc, s10, v2
	v_rcp_iflag_f32_e32 v1, v1
	s_cmp_eq_u32 s14, 1
	v_max_u32_e32 v4, 0x100, v2
	v_addc_co_u32_e64 v2, s[4:5], v0, v3, vcc
	v_mul_f32_e32 v1, 0x4f7ffffe, v1
	v_cvt_u32_f32_e32 v1, v1
	s_cselect_b64 s[12:13], -1, 0
	s_sub_i32 s4, 0, s14
	v_sub_u32_e32 v2, v4, v2
	v_mul_lo_u32 v3, s4, v1
	v_mul_hi_u32 v3, v1, v3
	v_add_u32_e32 v1, v1, v3
	v_mul_hi_u32 v1, v2, v1
	v_mul_lo_u32 v3, v1, s14
	v_sub_u32_e32 v2, v2, v3
	v_add_u32_e32 v4, 1, v1
	v_cmp_le_u32_e64 s[4:5], s14, v2
	v_subrev_u32_e32 v3, s14, v2
	s_load_dwordx2 s[8:9], s[0:1], 0x0
	v_cndmask_b32_e64 v1, v1, v4, s[4:5]
	v_cndmask_b32_e64 v2, v2, v3, s[4:5]
	v_add_u32_e32 v3, 1, v1
	v_cmp_le_u32_e64 s[4:5], s14, v2
	s_mov_b64 s[10:11], -1
	v_mov_b32_e32 v2, v0
	v_cndmask_b32_e64 v3, v1, v3, s[4:5]
	v_addc_co_u32_e64 v1, s[4:5], 1, v3, vcc
	v_cmp_lt_u32_e64 s[4:5], 1, v1
	s_and_b64 s[12:13], s[4:5], s[12:13]
	s_and_saveexec_b64 s[4:5], s[12:13]
	s_cbranch_execz .LBB96_10
; %bb.2:
	v_addc_co_u32_e32 v2, vcc, 0, v3, vcc
	v_add_u32_e32 v2, -1, v2
	v_lshrrev_b32_e32 v3, 1, v2
	v_add_u32_e32 v4, 1, v3
	v_cmp_lt_u32_e32 vcc, 13, v2
	v_mov_b32_e32 v7, 0
	s_and_saveexec_b64 s[10:11], vcc
	s_cbranch_execz .LBB96_6
; %bb.3:
	v_mov_b32_e32 v2, 0x3180
	v_and_b32_e32 v5, -8, v4
	v_lshl_add_u32 v6, v0, 2, v2
	s_mov_b32 s15, 0
	s_mov_b64 s[12:13], 0
	v_mov_b32_e32 v3, 0
	v_mov_b32_e32 v2, v0
.LBB96_4:                               ; =>This Inner Loop Header: Depth=1
	s_waitcnt lgkmcnt(0)
	v_lshl_add_u64 v[8:9], v[2:3], 2, s[8:9]
	v_add_u32_e32 v10, 2, v2
	v_mov_b32_e32 v11, v3
	v_add_u32_e32 v12, 4, v2
	v_mov_b32_e32 v13, v3
	;; [unrolled: 2-line block ×7, first 2 shown]
	v_lshl_add_u64 v[10:11], v[10:11], 2, s[8:9]
	v_lshl_add_u64 v[12:13], v[12:13], 2, s[8:9]
	;; [unrolled: 1-line block ×7, first 2 shown]
	global_load_dwordx2 v[24:25], v[8:9], off
	global_load_dwordx2 v[26:27], v[10:11], off
	;; [unrolled: 1-line block ×8, first 2 shown]
	v_add_u32_e32 v5, -8, v5
	s_add_i32 s15, s15, 16
	v_cmp_eq_u32_e32 vcc, 0, v5
	v_add_u32_e32 v2, 16, v2
	v_mov_b32_e32 v7, s15
	s_or_b64 s[12:13], vcc, s[12:13]
	s_waitcnt vmcnt(7)
	ds_write2_b32 v6, v24, v25 offset1:1
	s_waitcnt vmcnt(6)
	ds_write2_b32 v6, v26, v27 offset0:2 offset1:3
	s_waitcnt vmcnt(5)
	ds_write2_b32 v6, v28, v29 offset0:4 offset1:5
	;; [unrolled: 2-line block ×7, first 2 shown]
	v_add_u32_e32 v6, 64, v6
	s_andn2_b64 exec, exec, s[12:13]
	s_cbranch_execnz .LBB96_4
; %bb.5:
	s_or_b64 exec, exec, s[12:13]
.LBB96_6:
	s_or_b64 exec, exec, s[10:11]
	v_and_b32_e32 v4, 7, v4
	v_cmp_ne_u32_e32 vcc, 0, v4
	s_and_saveexec_b64 s[10:11], vcc
	s_cbranch_execz .LBB96_9
; %bb.7:
	v_add_u32_e32 v2, v0, v7
	v_mov_b32_e32 v3, 0x3180
	v_lshl_add_u32 v5, v2, 2, v3
	s_mov_b64 s[12:13], 0
	v_mov_b32_e32 v3, 0
.LBB96_8:                               ; =>This Inner Loop Header: Depth=1
	s_waitcnt lgkmcnt(0)
	v_lshl_add_u64 v[6:7], v[2:3], 2, s[8:9]
	global_load_dwordx2 v[6:7], v[6:7], off
	v_add_u32_e32 v4, -1, v4
	v_cmp_eq_u32_e32 vcc, 0, v4
	v_add_u32_e32 v2, 2, v2
	s_or_b64 s[12:13], vcc, s[12:13]
	s_waitcnt vmcnt(0)
	ds_write2_b32 v5, v6, v7 offset1:1
	v_add_u32_e32 v5, 8, v5
	s_andn2_b64 exec, exec, s[12:13]
	s_cbranch_execnz .LBB96_8
.LBB96_9:
	s_or_b64 exec, exec, s[10:11]
	v_and_b32_e32 v3, -2, v1
	v_cmp_ne_u32_e32 vcc, v1, v3
	v_add_u32_e32 v2, v0, v3
	s_orn2_b64 s[10:11], vcc, exec
.LBB96_10:
	s_or_b64 exec, exec, s[4:5]
	s_and_b64 exec, exec, s[10:11]
	s_cbranch_execz .LBB96_13
; %bb.11:
	v_mov_b32_e32 v3, 0
	v_mov_b32_e32 v1, 0x3180
	s_mov_b32 s5, 0
	s_waitcnt lgkmcnt(0)
	v_lshl_add_u64 v[4:5], v[2:3], 2, s[8:9]
	s_lshl_b32 s4, s14, 2
	v_lshl_add_u32 v1, v2, 2, v1
	s_mov_b64 s[8:9], 0
	s_movk_i32 s10, 0xff
.LBB96_12:                              ; =>This Inner Loop Header: Depth=1
	global_load_dword v3, v[4:5], off
	v_add_u32_e32 v2, s14, v2
	v_cmp_lt_u32_e32 vcc, s10, v2
	v_lshl_add_u64 v[4:5], v[4:5], 0, s[4:5]
	s_or_b64 s[8:9], vcc, s[8:9]
	s_waitcnt vmcnt(0)
	ds_write_b32 v1, v3
	v_add_u32_e32 v1, s4, v1
	s_andn2_b64 exec, exec, s[8:9]
	s_cbranch_execnz .LBB96_12
.LBB96_13:
	s_or_b64 exec, exec, s[6:7]
	s_waitcnt lgkmcnt(0)
	s_lshl_b32 s30, s3, 12
	s_lshl_b32 s28, s2, 12
	s_cmp_ge_i32 s28, s30
	s_cbranch_scc1 .LBB96_78
; %bb.14:
	v_mbcnt_lo_u32_b32 v1, -1, 0
	s_load_dwordx2 s[2:3], s[0:1], 0x8
	s_load_dwordx4 s[24:27], s[0:1], 0x10
	s_load_dword s6, s[0:1], 0x2c
	v_mbcnt_hi_u32_b32 v2, -1, v1
	v_lshlrev_b32_e32 v1, 2, v0
	v_and_b32_e32 v6, 0xf00, v1
	v_mov_b32_e32 v3, 0
	v_lshlrev_b32_e32 v4, 1, v2
	v_mov_b32_e32 v5, v3
	v_or_b32_e32 v12, v2, v6
	s_waitcnt lgkmcnt(0)
	v_lshl_add_u64 v[4:5], s[2:3], 0, v[4:5]
	v_lshlrev_b32_e32 v8, 1, v6
	v_mov_b32_e32 v9, v3
	v_lshrrev_b32_e32 v1, 5, v12
	v_lshl_add_u64 v[4:5], v[4:5], 0, v[8:9]
	v_add_u32_e32 v13, 64, v12
	v_and_b32_e32 v8, 0x7a, v1
	v_and_b32_e32 v32, 63, v2
	v_add_lshl_u32 v16, v8, v12, 1
	v_lshrrev_b32_e32 v8, 5, v13
	v_cmp_ne_u32_e32 vcc, 63, v32
	v_or_b32_e32 v14, 0x80, v12
	v_and_b32_e32 v9, 0x7e, v8
	v_addc_co_u32_e32 v22, vcc, 0, v2, vcc
	v_add_lshl_u32 v17, v9, v13, 1
	v_lshrrev_b32_e32 v9, 5, v14
	v_cmp_gt_u32_e32 vcc, 62, v32
	v_add_u32_e32 v15, 0xc0, v12
	v_and_b32_e32 v10, 0x7e, v9
	v_cndmask_b32_e64 v24, 0, 1, vcc
	v_cmp_gt_u32_e32 vcc, 60, v32
	v_add_lshl_u32 v18, v10, v14, 1
	v_lshrrev_b32_e32 v10, 5, v15
	v_cndmask_b32_e64 v26, 0, 1, vcc
	v_cmp_gt_u32_e32 vcc, 56, v32
	v_and_b32_e32 v11, 0xfe, v10
	v_and_b32_e32 v20, 0x3c0, v0
	v_cndmask_b32_e64 v28, 0, 1, vcc
	v_cmp_gt_u32_e32 vcc, 48, v32
	v_add_lshl_u32 v19, v11, v15, 1
	v_add_u32_e32 v11, v2, v20
	v_cndmask_b32_e64 v30, 0, 1, vcc
	v_cmp_gt_u32_e32 vcc, 32, v32
	v_and_b32_e32 v43, 15, v2
	v_lshlrev_b32_e32 v44, 2, v11
	v_bfe_u32 v11, v11, 3, 27
	v_cndmask_b32_e64 v32, 0, 1, vcc
	v_cmp_ne_u32_e32 vcc, 15, v43
	v_and_b32_e32 v21, 0xfe, v11
	v_lshrrev_b32_e32 v34, 4, v0
	v_cmp_gt_u32_e64 s[2:3], 16, v0
	v_addc_co_u32_e32 v37, vcc, 0, v2, vcc
	v_cmp_eq_u32_e64 s[4:5], 0, v0
	v_and_b32_e32 v0, 0xfc, v11
	v_add_lshl_u32 v21, v21, v44, 1
	v_cmp_gt_u32_e32 vcc, 14, v43
	v_add_u32_e32 v44, v0, v44
	v_and_b32_e32 v0, 0x78, v1
	v_cndmask_b32_e64 v39, 0, 1, vcc
	v_cmp_gt_u32_e32 vcc, 12, v43
	v_add_u32_e32 v45, v0, v12
	v_and_b32_e32 v0, 0x7c, v8
	v_cndmask_b32_e64 v41, 0, 1, vcc
	;; [unrolled: 4-line block ×3, first 2 shown]
	v_add_u32_e32 v47, v0, v14
	v_and_b32_e32 v0, 0xfc, v10
	v_mov_b32_e32 v7, v3
	v_lshlrev_b32_e32 v24, 1, v24
	v_lshlrev_b32_e32 v26, 2, v26
	;; [unrolled: 1-line block ×5, first 2 shown]
	v_mov_b32_e32 v35, 0x3580
	v_lshlrev_b32_e32 v39, 1, v39
	v_lshlrev_b32_e32 v41, 2, v41
	v_lshlrev_b32_e32 v42, 3, v42
	v_add_u32_e32 v48, v0, v15
	v_lshl_add_u64 v[0:1], s[26:27], 0, v[2:3]
	v_lshlrev_b32_e32 v22, 2, v22
	v_add_u32_e32 v23, 1, v2
	v_add_lshl_u32 v24, v24, v2, 2
	v_add_u32_e32 v25, 2, v2
	v_add_lshl_u32 v26, v26, v2, 2
	;; [unrolled: 2-line block ×5, first 2 shown]
	v_add_u32_e32 v33, 32, v2
	v_cmp_eq_u32_e64 s[0:1], 0, v2
	v_and_or_b32 v34, v34, 60, v35
	v_lshl_add_u32 v35, v2, 2, v35
	v_add_u32_e32 v36, 1, v43
	v_lshlrev_b32_e32 v37, 2, v37
	v_add_u32_e32 v38, 2, v43
	v_add_lshl_u32 v39, v39, v2, 2
	v_add_u32_e32 v40, 4, v43
	v_add_lshl_u32 v41, v41, v2, 2
	v_add_lshl_u32 v42, v42, v2, 2
	v_add_u32_e32 v43, 8, v43
	v_lshl_add_u64 v[0:1], v[0:1], 0, v[6:7]
	s_sub_i32 s26, s6, s28
	s_mov_b32 s27, 0xff7fffff
	s_movk_i32 s31, 0xff
	s_movk_i32 s33, 0x3400
	;; [unrolled: 1-line block ×3, first 2 shown]
	v_mov_b32_e32 v2, 0x7f
	v_mov_b32_e32 v49, 0xbf
	v_not_b32_e32 v50, 31
	v_mov_b32_e32 v51, 0xff
	s_branch .LBB96_16
.LBB96_15:                              ;   in Loop: Header=BB96_16 Depth=1
	s_or_b64 exec, exec, s[6:7]
	s_add_i32 s28, s28, s30
	s_sub_i32 s26, s26, s30
	s_cmp_ge_i32 s28, s30
	s_cbranch_scc1 .LBB96_78
.LBB96_16:                              ; =>This Inner Loop Header: Depth=1
	s_min_i32 s35, s26, 0x1000
	s_ashr_i32 s29, s28, 31
	v_lshl_add_u64 v[6:7], s[28:29], 1, v[4:5]
	v_cmp_gt_u32_e64 s[6:7], s35, v12
	s_waitcnt lgkmcnt(0)
	v_mov_b32_e32 v8, 0
	s_barrier
	s_and_saveexec_b64 s[8:9], s[6:7]
	s_cbranch_execz .LBB96_18
; %bb.17:                               ;   in Loop: Header=BB96_16 Depth=1
	global_load_ushort v8, v[6:7], off
.LBB96_18:                              ;   in Loop: Header=BB96_16 Depth=1
	s_or_b64 exec, exec, s[8:9]
	v_cmp_gt_u32_e64 s[8:9], s35, v13
	v_mov_b32_e32 v9, 0
	v_mov_b32_e32 v10, 0
	s_and_saveexec_b64 s[10:11], s[8:9]
	s_cbranch_execz .LBB96_20
; %bb.19:                               ;   in Loop: Header=BB96_16 Depth=1
	global_load_ushort v10, v[6:7], off offset:128
.LBB96_20:                              ;   in Loop: Header=BB96_16 Depth=1
	s_or_b64 exec, exec, s[10:11]
	v_cmp_gt_u32_e64 s[10:11], s35, v14
	s_and_saveexec_b64 s[12:13], s[10:11]
	s_cbranch_execz .LBB96_22
; %bb.21:                               ;   in Loop: Header=BB96_16 Depth=1
	global_load_ushort v9, v[6:7], off offset:256
.LBB96_22:                              ;   in Loop: Header=BB96_16 Depth=1
	s_or_b64 exec, exec, s[12:13]
	v_cmp_gt_u32_e64 s[12:13], s35, v15
	v_mov_b32_e32 v11, 0
	s_and_saveexec_b64 s[14:15], s[12:13]
	s_cbranch_execz .LBB96_24
; %bb.23:                               ;   in Loop: Header=BB96_16 Depth=1
	global_load_ushort v11, v[6:7], off offset:384
.LBB96_24:                              ;   in Loop: Header=BB96_16 Depth=1
	s_or_b64 exec, exec, s[14:15]
	s_waitcnt vmcnt(0)
	ds_write_b16 v16, v8
	ds_write_b16 v17, v10
	;; [unrolled: 1-line block ×4, first 2 shown]
	; wave barrier
	ds_read_b64 v[10:11], v21
	s_waitcnt lgkmcnt(0)
	v_cvt_f32_f16_e64 v6, |v10|
	v_cvt_f32_f16_sdwa v7, |v10| dst_sel:DWORD dst_unused:UNUSED_PAD src0_sel:WORD_1
	v_cvt_f32_f16_e64 v8, |v11|
	v_cvt_f32_f16_sdwa v9, |v11| dst_sel:DWORD dst_unused:UNUSED_PAD src0_sel:WORD_1
	v_max3_f32 v6, v6, s27, v7
	v_max3_f32 v6, v6, v8, v9
	ds_bpermute_b32 v7, v22, v6
	v_sub_u32_e64 v8, s35, v20 clamp
	v_cmp_lt_u32_e64 s[20:21], v33, v8
	s_waitcnt lgkmcnt(0)
	v_cmp_lt_f32_e32 vcc, v6, v7
	s_nop 1
	v_cndmask_b32_e32 v7, v6, v7, vcc
	v_cmp_lt_u32_e32 vcc, v23, v8
	s_nop 1
	v_cndmask_b32_e32 v7, v6, v7, vcc
	ds_bpermute_b32 v9, v24, v7
	s_waitcnt lgkmcnt(0)
	v_cmp_lt_f32_e64 s[14:15], v7, v9
	s_nop 1
	v_cndmask_b32_e64 v9, v7, v9, s[14:15]
	v_cmp_lt_u32_e64 s[14:15], v25, v8
	s_nop 1
	v_cndmask_b32_e64 v7, v7, v9, s[14:15]
	ds_bpermute_b32 v9, v26, v7
	s_or_b64 s[14:15], vcc, s[14:15]
	s_waitcnt lgkmcnt(0)
	v_cmp_lt_f32_e64 s[16:17], v7, v9
	s_nop 1
	v_cndmask_b32_e64 v9, v7, v9, s[16:17]
	v_cmp_lt_u32_e64 s[16:17], v27, v8
	s_or_b64 s[14:15], s[16:17], s[14:15]
	s_nop 0
	v_cndmask_b32_e64 v7, v7, v9, s[16:17]
	ds_bpermute_b32 v9, v28, v7
	s_waitcnt lgkmcnt(0)
	v_cmp_lt_f32_e64 s[18:19], v7, v9
	s_nop 1
	v_cndmask_b32_e64 v9, v7, v9, s[18:19]
	v_cmp_lt_u32_e64 s[18:19], v29, v8
	s_or_b64 s[14:15], s[18:19], s[14:15]
	s_nop 0
	v_cndmask_b32_e64 v7, v7, v9, s[18:19]
	ds_bpermute_b32 v9, v30, v7
	;; [unrolled: 9-line block ×3, first 2 shown]
	s_waitcnt lgkmcnt(0)
	v_cmp_lt_f32_e32 vcc, v7, v8
	s_and_b64 vcc, s[20:21], vcc
	s_nop 0
	v_cndmask_b32_e32 v7, v7, v8, vcc
	s_or_b64 vcc, s[20:21], s[14:15]
	v_cndmask_b32_e32 v6, v6, v7, vcc
	s_and_saveexec_b64 s[14:15], s[0:1]
	s_cbranch_execz .LBB96_26
; %bb.25:                               ;   in Loop: Header=BB96_16 Depth=1
	ds_write_b32 v34, v6
.LBB96_26:                              ;   in Loop: Header=BB96_16 Depth=1
	s_or_b64 exec, exec, s[14:15]
	s_waitcnt lgkmcnt(0)
	s_barrier
	s_and_saveexec_b64 s[18:19], s[2:3]
	s_cbranch_execz .LBB96_28
; %bb.27:                               ;   in Loop: Header=BB96_16 Depth=1
	ds_read_b32 v6, v35
	s_add_i32 s35, s35, 63
	s_lshr_b32 s16, s35, 6
	s_waitcnt lgkmcnt(0)
	ds_bpermute_b32 v7, v37, v6
	s_waitcnt lgkmcnt(0)
	v_cmp_lt_f32_e32 vcc, v6, v7
	s_nop 1
	v_cndmask_b32_e32 v7, v6, v7, vcc
	v_cmp_gt_u32_e32 vcc, s16, v36
	s_nop 1
	v_cndmask_b32_e32 v7, v6, v7, vcc
	ds_bpermute_b32 v8, v39, v7
	s_waitcnt lgkmcnt(0)
	v_cmp_lt_f32_e64 s[14:15], v7, v8
	s_nop 1
	v_cndmask_b32_e64 v8, v7, v8, s[14:15]
	v_cmp_gt_u32_e64 s[14:15], s16, v38
	s_nop 1
	v_cndmask_b32_e64 v7, v7, v8, s[14:15]
	ds_bpermute_b32 v8, v41, v7
	s_waitcnt lgkmcnt(0)
	v_cmp_lt_f32_e64 s[14:15], v7, v8
	s_nop 1
	v_cndmask_b32_e64 v8, v7, v8, s[14:15]
	v_cmp_gt_u32_e64 s[14:15], s16, v40
	s_nop 1
	v_cndmask_b32_e64 v7, v7, v8, s[14:15]
	ds_bpermute_b32 v8, v42, v7
	v_cmp_gt_u32_e64 s[14:15], s16, v43
	s_waitcnt lgkmcnt(0)
	v_cmp_lt_f32_e64 s[16:17], v7, v8
	s_and_b64 s[14:15], s[14:15], s[16:17]
	v_cndmask_b32_e64 v7, v7, v8, s[14:15]
	v_cndmask_b32_e32 v6, v6, v7, vcc
.LBB96_28:                              ;   in Loop: Header=BB96_16 Depth=1
	s_or_b64 exec, exec, s[18:19]
	s_and_saveexec_b64 s[14:15], s[4:5]
	s_cbranch_execz .LBB96_30
; %bb.29:                               ;   in Loop: Header=BB96_16 Depth=1
	v_div_scale_f32 v7, s[16:17], v6, v6, 1.0
	v_rcp_f32_e32 v8, v7
	v_div_scale_f32 v9, vcc, 1.0, v6, 1.0
	s_ashr_i32 s16, s28, 12
	v_fma_f32 v52, -v7, v8, 1.0
	v_fmac_f32_e32 v8, v52, v8
	v_mul_f32_e32 v52, v9, v8
	v_fma_f32 v53, -v7, v52, v9
	v_fmac_f32_e32 v52, v53, v8
	s_ashr_i32 s17, s16, 31
	v_fma_f32 v7, -v7, v52, v9
	s_lshl_b64 s[16:17], s[16:17], 2
	v_div_fmas_f32 v7, v7, v8, v52
	s_add_u32 s16, s24, s16
	v_div_fixup_f32 v7, v7, v6, 1.0
	s_addc_u32 s17, s25, s17
	ds_write_b32 v3, v7 offset:13760
	global_store_dword v3, v6, s[16:17]
.LBB96_30:                              ;   in Loop: Header=BB96_16 Depth=1
	s_or_b64 exec, exec, s[14:15]
	v_add_u32_e64 v6, s33, 0
	s_waitcnt lgkmcnt(0)
	s_barrier
	ds_read2_b32 v[6:7], v6 offset0:95 offset1:112
	v_add_u32_e64 v8, s34, 0
	ds_read2_b32 v[8:9], v8 offset0:96 offset1:223
	v_cvt_f32_f16_e32 v52, v10
	v_mov_b32_e32 v61, -16
	s_waitcnt lgkmcnt(1)
	v_mul_f32_e32 v53, v7, v52
	s_waitcnt lgkmcnt(0)
	v_cmp_lt_f32_e32 vcc, v9, v53
	s_nop 1
	v_cndmask_b32_e32 v59, 63, v49, vcc
	v_lshlrev_b32_e32 v52, 2, v59
	ds_read_b32 v60, v52 offset:12672
	v_add_u32_e32 v52, 0x3180, v52
	v_cndmask_b32_e32 v54, 0, v2, vcc
	v_cndmask_b32_e32 v57, -1.0, v9, vcc
	s_waitcnt lgkmcnt(0)
	v_cmp_lt_f32_e64 s[14:15], v60, v53
	s_nop 1
	v_cndmask_b32_e64 v58, v50, 32, s[14:15]
	v_lshl_add_u32 v56, v58, 2, v52
	ds_read_b32 v52, v56
	v_add_u32_e32 v58, v59, v58
	v_cndmask_b32_e64 v55, v54, v59, s[14:15]
	v_cndmask_b32_e64 v57, v57, v60, s[14:15]
	v_mov_b32_e32 v54, v58
	s_waitcnt lgkmcnt(0)
	v_cmp_lt_f32_e64 s[16:17], v52, v53
	s_and_saveexec_b64 s[18:19], s[16:17]
; %bb.31:                               ;   in Loop: Header=BB96_16 Depth=1
	v_cndmask_b32_e32 v54, v2, v51, vcc
	v_cndmask_b32_e64 v55, v9, 1.0, vcc
	v_cndmask_b32_e64 v54, v59, v54, s[14:15]
	v_cndmask_b32_e64 v59, v60, v55, s[14:15]
	v_mov_b32_e32 v61, 16
	v_mov_b32_e32 v55, v58
	;; [unrolled: 1-line block ×4, first 2 shown]
; %bb.32:                               ;   in Loop: Header=BB96_16 Depth=1
	s_or_b64 exec, exec, s[18:19]
	v_lshl_add_u32 v56, v61, 2, v56
	ds_read_b32 v62, v56
	v_add_u32_e32 v63, v61, v58
	v_mov_b32_e32 v61, -4
	s_waitcnt lgkmcnt(0)
	v_cmp_lt_f32_e32 vcc, v62, v53
	s_nop 1
	v_cndmask_b32_e64 v60, -8, 8, vcc
	v_lshl_add_u32 v58, v60, 2, v56
	ds_read_b32 v56, v58
	v_add_u32_e32 v60, v60, v63
	v_cndmask_b32_e32 v55, v55, v63, vcc
	v_cndmask_b32_e32 v59, v57, v62, vcc
	v_mov_b32_e32 v57, v60
	s_waitcnt lgkmcnt(0)
	v_cmp_lt_f32_e64 s[14:15], v56, v53
	s_and_saveexec_b64 s[16:17], s[14:15]
; %bb.33:                               ;   in Loop: Header=BB96_16 Depth=1
	v_cndmask_b32_e32 v52, v62, v52, vcc
	v_cndmask_b32_e32 v57, v63, v54, vcc
	v_mov_b32_e32 v61, 4
	v_mov_b32_e32 v55, v60
	;; [unrolled: 1-line block ×4, first 2 shown]
; %bb.34:                               ;   in Loop: Header=BB96_16 Depth=1
	s_or_b64 exec, exec, s[16:17]
	v_lshl_add_u32 v52, v61, 2, v58
	ds_read_b32 v62, v52
	v_add_u32_e32 v63, v61, v60
	v_mov_b32_e32 v61, -1
	s_waitcnt lgkmcnt(0)
	v_cmp_lt_f32_e32 vcc, v62, v53
	s_nop 1
	v_cndmask_b32_e64 v60, -2, 2, vcc
	v_lshl_add_u32 v52, v60, 2, v52
	ds_read_b32 v54, v52
	v_add_u32_e32 v60, v60, v63
	v_cndmask_b32_e32 v58, v55, v63, vcc
	v_cndmask_b32_e32 v59, v59, v62, vcc
	v_mov_b32_e32 v55, v60
	s_waitcnt lgkmcnt(0)
	v_cmp_lt_f32_e64 s[14:15], v54, v53
	s_and_saveexec_b64 s[16:17], s[14:15]
; %bb.35:                               ;   in Loop: Header=BB96_16 Depth=1
	v_cndmask_b32_e32 v56, v62, v56, vcc
	v_cndmask_b32_e32 v55, v63, v57, vcc
	v_mov_b32_e32 v61, 1
	v_mov_b32_e32 v58, v60
	;; [unrolled: 1-line block ×4, first 2 shown]
; %bb.36:                               ;   in Loop: Header=BB96_16 Depth=1
	s_or_b64 exec, exec, s[16:17]
	v_lshl_add_u32 v52, v61, 2, v52
	ds_read_b32 v57, v52
	v_add_u32_e32 v56, v61, v60
                                        ; implicit-def: $vgpr52
	s_waitcnt lgkmcnt(0)
	v_cmp_nlt_f32_e32 vcc, v57, v53
	s_and_saveexec_b64 s[14:15], vcc
	s_xor_b64 s[14:15], exec, s[14:15]
; %bb.37:                               ;   in Loop: Header=BB96_16 Depth=1
	v_cmp_eq_u32_e32 vcc, 0, v58
                                        ; implicit-def: $vgpr55
                                        ; implicit-def: $vgpr54
	s_nop 1
	v_cndmask_b32_e32 v52, v59, v8, vcc
	v_add_f32_e32 v52, v57, v52
	v_mul_f32_e32 v52, 0.5, v52
	v_cmp_gt_f32_e32 vcc, v52, v53
                                        ; implicit-def: $vgpr57
                                        ; implicit-def: $vgpr53
	s_nop 1
	v_cndmask_b32_e32 v52, v56, v58, vcc
                                        ; implicit-def: $vgpr56
; %bb.38:                               ;   in Loop: Header=BB96_16 Depth=1
	s_andn2_saveexec_b64 s[14:15], s[14:15]
; %bb.39:                               ;   in Loop: Header=BB96_16 Depth=1
	v_cmp_eq_u32_e32 vcc, s31, v55
	s_nop 1
	v_cndmask_b32_e32 v52, v54, v6, vcc
	v_add_f32_e32 v52, v57, v52
	v_mul_f32_e32 v52, 0.5, v52
	v_cmp_lt_f32_e32 vcc, v52, v53
	s_nop 1
	v_cndmask_b32_e32 v52, v56, v55, vcc
; %bb.40:                               ;   in Loop: Header=BB96_16 Depth=1
	s_or_b64 exec, exec, s[14:15]
	v_cvt_f32_f16_sdwa v10, v10 dst_sel:DWORD dst_unused:UNUSED_PAD src0_sel:WORD_1
	v_mov_b32_e32 v55, -16
	v_mul_f32_e32 v53, v7, v10
	v_cmp_lt_f32_e32 vcc, v9, v53
	s_nop 1
	v_cndmask_b32_e32 v59, 63, v49, vcc
	v_lshlrev_b32_e32 v10, 2, v59
	ds_read_b32 v60, v10 offset:12672
	v_add_u32_e32 v10, 0x3180, v10
	v_cndmask_b32_e32 v54, 0, v2, vcc
	v_cndmask_b32_e32 v58, -1.0, v9, vcc
	s_waitcnt lgkmcnt(0)
	v_cmp_lt_f32_e64 s[14:15], v60, v53
	s_nop 1
	v_cndmask_b32_e64 v61, v50, 32, s[14:15]
	v_lshl_add_u32 v56, v61, 2, v10
	ds_read_b32 v10, v56
	v_add_u32_e32 v61, v59, v61
	v_cndmask_b32_e64 v57, v54, v59, s[14:15]
	v_cndmask_b32_e64 v58, v58, v60, s[14:15]
	v_mov_b32_e32 v54, v61
	s_waitcnt lgkmcnt(0)
	v_cmp_lt_f32_e64 s[16:17], v10, v53
	s_and_saveexec_b64 s[18:19], s[16:17]
; %bb.41:                               ;   in Loop: Header=BB96_16 Depth=1
	v_cndmask_b32_e32 v54, v2, v51, vcc
	v_cndmask_b32_e64 v55, v9, 1.0, vcc
	v_cndmask_b32_e64 v54, v59, v54, s[14:15]
	v_cndmask_b32_e64 v59, v60, v55, s[14:15]
	v_mov_b32_e32 v55, 16
	v_mov_b32_e32 v57, v61
	;; [unrolled: 1-line block ×4, first 2 shown]
; %bb.42:                               ;   in Loop: Header=BB96_16 Depth=1
	s_or_b64 exec, exec, s[18:19]
	v_lshl_add_u32 v56, v55, 2, v56
	ds_read_b32 v62, v56
	v_add_u32_e32 v63, v55, v61
	v_mov_b32_e32 v61, -4
	s_waitcnt lgkmcnt(0)
	v_cmp_lt_f32_e32 vcc, v62, v53
	s_nop 1
	v_cndmask_b32_e64 v64, -8, 8, vcc
	v_lshl_add_u32 v60, v64, 2, v56
	ds_read_b32 v56, v60
	v_cndmask_b32_e32 v59, v58, v62, vcc
	v_add_u32_e32 v58, v64, v63
	v_cndmask_b32_e32 v55, v57, v63, vcc
	v_mov_b32_e32 v57, v58
	s_waitcnt lgkmcnt(0)
	v_cmp_lt_f32_e64 s[14:15], v56, v53
	s_and_saveexec_b64 s[16:17], s[14:15]
; %bb.43:                               ;   in Loop: Header=BB96_16 Depth=1
	v_cndmask_b32_e32 v10, v62, v10, vcc
	v_cndmask_b32_e32 v57, v63, v54, vcc
	v_mov_b32_e32 v61, 4
	v_mov_b32_e32 v55, v58
	;; [unrolled: 1-line block ×4, first 2 shown]
; %bb.44:                               ;   in Loop: Header=BB96_16 Depth=1
	s_or_b64 exec, exec, s[16:17]
	v_lshl_add_u32 v10, v61, 2, v60
	ds_read_b32 v62, v10
	v_add_u32_e32 v63, v61, v58
	v_mov_b32_e32 v61, -1
	s_waitcnt lgkmcnt(0)
	v_cmp_lt_f32_e32 vcc, v62, v53
	s_nop 1
	v_cndmask_b32_e64 v60, -2, 2, vcc
	v_lshl_add_u32 v10, v60, 2, v10
	ds_read_b32 v54, v10
	v_add_u32_e32 v60, v60, v63
	v_cndmask_b32_e32 v58, v55, v63, vcc
	v_cndmask_b32_e32 v59, v59, v62, vcc
	v_mov_b32_e32 v55, v60
	s_waitcnt lgkmcnt(0)
	v_cmp_lt_f32_e64 s[14:15], v54, v53
	s_and_saveexec_b64 s[16:17], s[14:15]
; %bb.45:                               ;   in Loop: Header=BB96_16 Depth=1
	v_cndmask_b32_e32 v56, v62, v56, vcc
	v_cndmask_b32_e32 v55, v63, v57, vcc
	v_mov_b32_e32 v61, 1
	v_mov_b32_e32 v58, v60
	;; [unrolled: 1-line block ×4, first 2 shown]
; %bb.46:                               ;   in Loop: Header=BB96_16 Depth=1
	s_or_b64 exec, exec, s[16:17]
	v_lshl_add_u32 v10, v61, 2, v10
	ds_read_b32 v57, v10
	v_add_u32_e32 v56, v61, v60
                                        ; implicit-def: $vgpr10
	s_waitcnt lgkmcnt(0)
	v_cmp_nlt_f32_e32 vcc, v57, v53
	s_and_saveexec_b64 s[14:15], vcc
	s_xor_b64 s[14:15], exec, s[14:15]
; %bb.47:                               ;   in Loop: Header=BB96_16 Depth=1
	v_cmp_eq_u32_e32 vcc, 0, v58
                                        ; implicit-def: $vgpr55
                                        ; implicit-def: $vgpr54
	s_nop 1
	v_cndmask_b32_e32 v10, v59, v8, vcc
	v_add_f32_e32 v10, v57, v10
	v_mul_f32_e32 v10, 0.5, v10
	v_cmp_gt_f32_e32 vcc, v10, v53
                                        ; implicit-def: $vgpr57
                                        ; implicit-def: $vgpr53
	s_nop 1
	v_cndmask_b32_e32 v10, v56, v58, vcc
                                        ; implicit-def: $vgpr56
; %bb.48:                               ;   in Loop: Header=BB96_16 Depth=1
	s_andn2_saveexec_b64 s[14:15], s[14:15]
; %bb.49:                               ;   in Loop: Header=BB96_16 Depth=1
	v_cmp_eq_u32_e32 vcc, s31, v55
	s_nop 1
	v_cndmask_b32_e32 v10, v54, v6, vcc
	v_add_f32_e32 v10, v57, v10
	v_mul_f32_e32 v10, 0.5, v10
	v_cmp_lt_f32_e32 vcc, v10, v53
	s_nop 1
	v_cndmask_b32_e32 v10, v56, v55, vcc
; %bb.50:                               ;   in Loop: Header=BB96_16 Depth=1
	s_or_b64 exec, exec, s[14:15]
	v_cvt_f32_f16_e32 v53, v11
	v_mov_b32_e32 v56, -16
	v_mul_f32_e32 v54, v7, v53
	v_cmp_lt_f32_e32 vcc, v9, v54
	s_nop 1
	v_cndmask_b32_e32 v60, 63, v49, vcc
	v_lshlrev_b32_e32 v53, 2, v60
	ds_read_b32 v61, v53 offset:12672
	v_add_u32_e32 v53, 0x3180, v53
	v_cndmask_b32_e32 v55, 0, v2, vcc
	v_cndmask_b32_e32 v59, -1.0, v9, vcc
	s_waitcnt lgkmcnt(0)
	v_cmp_lt_f32_e64 s[14:15], v61, v54
	s_nop 1
	v_cndmask_b32_e64 v62, v50, 32, s[14:15]
	v_lshl_add_u32 v57, v62, 2, v53
	ds_read_b32 v53, v57
	v_add_u32_e32 v62, v60, v62
	v_cndmask_b32_e64 v58, v55, v60, s[14:15]
	v_cndmask_b32_e64 v59, v59, v61, s[14:15]
	v_mov_b32_e32 v55, v62
	s_waitcnt lgkmcnt(0)
	v_cmp_lt_f32_e64 s[16:17], v53, v54
	s_and_saveexec_b64 s[18:19], s[16:17]
; %bb.51:                               ;   in Loop: Header=BB96_16 Depth=1
	v_cndmask_b32_e32 v55, v2, v51, vcc
	v_cndmask_b32_e64 v56, v9, 1.0, vcc
	v_cndmask_b32_e64 v55, v60, v55, s[14:15]
	v_cndmask_b32_e64 v60, v61, v56, s[14:15]
	v_mov_b32_e32 v56, 16
	v_mov_b32_e32 v58, v62
	;; [unrolled: 1-line block ×4, first 2 shown]
; %bb.52:                               ;   in Loop: Header=BB96_16 Depth=1
	s_or_b64 exec, exec, s[18:19]
	v_lshl_add_u32 v57, v56, 2, v57
	ds_read_b32 v63, v57
	v_add_u32_e32 v64, v56, v62
	v_mov_b32_e32 v62, -4
	s_waitcnt lgkmcnt(0)
	v_cmp_lt_f32_e32 vcc, v63, v54
	s_nop 1
	v_cndmask_b32_e64 v65, -8, 8, vcc
	v_lshl_add_u32 v61, v65, 2, v57
	ds_read_b32 v57, v61
	v_cndmask_b32_e32 v60, v59, v63, vcc
	v_add_u32_e32 v59, v65, v64
	v_cndmask_b32_e32 v56, v58, v64, vcc
	v_mov_b32_e32 v58, v59
	s_waitcnt lgkmcnt(0)
	v_cmp_lt_f32_e64 s[14:15], v57, v54
	s_and_saveexec_b64 s[16:17], s[14:15]
; %bb.53:                               ;   in Loop: Header=BB96_16 Depth=1
	v_cndmask_b32_e32 v53, v63, v53, vcc
	v_cndmask_b32_e32 v58, v64, v55, vcc
	v_mov_b32_e32 v62, 4
	v_mov_b32_e32 v56, v59
	v_mov_b32_e32 v60, v57
	v_mov_b32_e32 v57, v53
; %bb.54:                               ;   in Loop: Header=BB96_16 Depth=1
	s_or_b64 exec, exec, s[16:17]
	v_lshl_add_u32 v53, v62, 2, v61
	ds_read_b32 v63, v53
	v_add_u32_e32 v64, v62, v59
	v_mov_b32_e32 v62, -1
	s_waitcnt lgkmcnt(0)
	v_cmp_lt_f32_e32 vcc, v63, v54
	s_nop 1
	v_cndmask_b32_e64 v61, -2, 2, vcc
	v_lshl_add_u32 v53, v61, 2, v53
	ds_read_b32 v55, v53
	v_add_u32_e32 v61, v61, v64
	v_cndmask_b32_e32 v59, v56, v64, vcc
	v_cndmask_b32_e32 v60, v60, v63, vcc
	v_mov_b32_e32 v56, v61
	s_waitcnt lgkmcnt(0)
	v_cmp_lt_f32_e64 s[14:15], v55, v54
	s_and_saveexec_b64 s[16:17], s[14:15]
; %bb.55:                               ;   in Loop: Header=BB96_16 Depth=1
	v_cndmask_b32_e32 v57, v63, v57, vcc
	v_cndmask_b32_e32 v56, v64, v58, vcc
	v_mov_b32_e32 v62, 1
	v_mov_b32_e32 v59, v61
	;; [unrolled: 1-line block ×4, first 2 shown]
; %bb.56:                               ;   in Loop: Header=BB96_16 Depth=1
	s_or_b64 exec, exec, s[16:17]
	v_lshl_add_u32 v53, v62, 2, v53
	ds_read_b32 v58, v53
	v_add_u32_e32 v57, v62, v61
                                        ; implicit-def: $vgpr53
	s_waitcnt lgkmcnt(0)
	v_cmp_nlt_f32_e32 vcc, v58, v54
	s_and_saveexec_b64 s[14:15], vcc
	s_xor_b64 s[14:15], exec, s[14:15]
; %bb.57:                               ;   in Loop: Header=BB96_16 Depth=1
	v_cmp_eq_u32_e32 vcc, 0, v59
                                        ; implicit-def: $vgpr56
                                        ; implicit-def: $vgpr55
	s_nop 1
	v_cndmask_b32_e32 v53, v60, v8, vcc
	v_add_f32_e32 v53, v58, v53
	v_mul_f32_e32 v53, 0.5, v53
	v_cmp_gt_f32_e32 vcc, v53, v54
                                        ; implicit-def: $vgpr58
                                        ; implicit-def: $vgpr54
	s_nop 1
	v_cndmask_b32_e32 v53, v57, v59, vcc
                                        ; implicit-def: $vgpr57
; %bb.58:                               ;   in Loop: Header=BB96_16 Depth=1
	s_andn2_saveexec_b64 s[14:15], s[14:15]
; %bb.59:                               ;   in Loop: Header=BB96_16 Depth=1
	v_cmp_eq_u32_e32 vcc, s31, v56
	s_nop 1
	v_cndmask_b32_e32 v53, v55, v6, vcc
	v_add_f32_e32 v53, v58, v53
	v_mul_f32_e32 v53, 0.5, v53
	v_cmp_lt_f32_e32 vcc, v53, v54
	s_nop 1
	v_cndmask_b32_e32 v53, v57, v56, vcc
; %bb.60:                               ;   in Loop: Header=BB96_16 Depth=1
	s_or_b64 exec, exec, s[14:15]
	v_cvt_f32_f16_sdwa v11, v11 dst_sel:DWORD dst_unused:UNUSED_PAD src0_sel:WORD_1
	v_mov_b32_e32 v54, -16
	v_mul_f32_e32 v7, v7, v11
	v_cmp_lt_f32_e32 vcc, v9, v7
	s_nop 1
	v_cndmask_b32_e32 v59, 63, v49, vcc
	v_lshlrev_b32_e32 v11, 2, v59
	ds_read_b32 v60, v11 offset:12672
	v_add_u32_e32 v11, 0x3180, v11
	v_cndmask_b32_e32 v55, 0, v2, vcc
	v_cndmask_b32_e32 v58, -1.0, v9, vcc
	s_waitcnt lgkmcnt(0)
	v_cmp_lt_f32_e64 s[14:15], v60, v7
	s_nop 1
	v_cndmask_b32_e64 v61, v50, 32, s[14:15]
	v_lshl_add_u32 v57, v61, 2, v11
	ds_read_b32 v11, v57
	v_add_u32_e32 v61, v59, v61
	v_cndmask_b32_e64 v56, v55, v59, s[14:15]
	v_cndmask_b32_e64 v58, v58, v60, s[14:15]
	v_mov_b32_e32 v55, v61
	s_waitcnt lgkmcnt(0)
	v_cmp_lt_f32_e64 s[16:17], v11, v7
	s_and_saveexec_b64 s[18:19], s[16:17]
; %bb.61:                               ;   in Loop: Header=BB96_16 Depth=1
	v_cndmask_b32_e64 v9, v9, 1.0, vcc
	v_cndmask_b32_e32 v54, v2, v51, vcc
	v_cndmask_b32_e64 v9, v60, v9, s[14:15]
	v_cndmask_b32_e64 v55, v59, v54, s[14:15]
	v_mov_b32_e32 v54, 16
	v_mov_b32_e32 v56, v61
	;; [unrolled: 1-line block ×4, first 2 shown]
; %bb.62:                               ;   in Loop: Header=BB96_16 Depth=1
	s_or_b64 exec, exec, s[18:19]
	v_lshl_add_u32 v9, v54, 2, v57
	ds_read_b32 v62, v9
	v_add_u32_e32 v61, v54, v61
	v_mov_b32_e32 v60, -4
	s_waitcnt lgkmcnt(0)
	v_cmp_lt_f32_e32 vcc, v62, v7
	s_nop 1
	v_cndmask_b32_e64 v59, -8, 8, vcc
	v_lshl_add_u32 v9, v59, 2, v9
	ds_read_b32 v54, v9
	v_add_u32_e32 v59, v59, v61
	v_cndmask_b32_e32 v57, v56, v61, vcc
	v_cndmask_b32_e32 v58, v58, v62, vcc
	v_mov_b32_e32 v56, v59
	s_waitcnt lgkmcnt(0)
	v_cmp_lt_f32_e64 s[14:15], v54, v7
	s_and_saveexec_b64 s[16:17], s[14:15]
; %bb.63:                               ;   in Loop: Header=BB96_16 Depth=1
	v_cndmask_b32_e32 v11, v62, v11, vcc
	v_cndmask_b32_e32 v56, v61, v55, vcc
	v_mov_b32_e32 v60, 4
	v_mov_b32_e32 v57, v59
	;; [unrolled: 1-line block ×4, first 2 shown]
; %bb.64:                               ;   in Loop: Header=BB96_16 Depth=1
	s_or_b64 exec, exec, s[16:17]
	v_lshl_add_u32 v9, v60, 2, v9
	ds_read_b32 v62, v9
	v_add_u32_e32 v63, v60, v59
	v_mov_b32_e32 v61, -1
	s_waitcnt lgkmcnt(0)
	v_cmp_lt_f32_e32 vcc, v62, v7
	s_nop 1
	v_cndmask_b32_e64 v11, -2, 2, vcc
	v_lshl_add_u32 v59, v11, 2, v9
	ds_read_b32 v9, v59
	v_add_u32_e32 v60, v11, v63
	v_cndmask_b32_e32 v55, v57, v63, vcc
	v_cndmask_b32_e32 v57, v58, v62, vcc
	v_mov_b32_e32 v11, v60
	s_waitcnt lgkmcnt(0)
	v_cmp_lt_f32_e64 s[14:15], v9, v7
	s_and_saveexec_b64 s[16:17], s[14:15]
; %bb.65:                               ;   in Loop: Header=BB96_16 Depth=1
	v_cndmask_b32_e32 v54, v62, v54, vcc
	v_cndmask_b32_e32 v11, v63, v56, vcc
	v_mov_b32_e32 v61, 1
	v_mov_b32_e32 v55, v60
	;; [unrolled: 1-line block ×4, first 2 shown]
; %bb.66:                               ;   in Loop: Header=BB96_16 Depth=1
	s_or_b64 exec, exec, s[16:17]
	v_lshl_add_u32 v54, v61, 2, v59
	ds_read_b32 v58, v54
	v_add_u32_e32 v56, v61, v60
                                        ; implicit-def: $vgpr54
	s_waitcnt lgkmcnt(0)
	v_cmp_nlt_f32_e32 vcc, v58, v7
	s_and_saveexec_b64 s[14:15], vcc
	s_xor_b64 s[14:15], exec, s[14:15]
; %bb.67:                               ;   in Loop: Header=BB96_16 Depth=1
	v_cmp_eq_u32_e32 vcc, 0, v55
                                        ; implicit-def: $vgpr11
                                        ; implicit-def: $vgpr9
	s_nop 1
	v_cndmask_b32_e32 v6, v57, v8, vcc
	v_add_f32_e32 v6, v58, v6
	v_mul_f32_e32 v6, 0.5, v6
	v_cmp_gt_f32_e32 vcc, v6, v7
                                        ; implicit-def: $vgpr6_vgpr7
                                        ; implicit-def: $vgpr58
                                        ; implicit-def: $vgpr7
	s_nop 1
	v_cndmask_b32_e32 v54, v56, v55, vcc
                                        ; implicit-def: $vgpr56
; %bb.68:                               ;   in Loop: Header=BB96_16 Depth=1
	s_andn2_saveexec_b64 s[14:15], s[14:15]
; %bb.69:                               ;   in Loop: Header=BB96_16 Depth=1
	v_cmp_eq_u32_e32 vcc, s31, v11
	s_nop 1
	v_cndmask_b32_e32 v6, v9, v6, vcc
	v_add_f32_e32 v6, v58, v6
	v_mul_f32_e32 v6, 0.5, v6
	v_cmp_lt_f32_e32 vcc, v6, v7
	s_nop 1
	v_cndmask_b32_e32 v54, v56, v11, vcc
; %bb.70:                               ;   in Loop: Header=BB96_16 Depth=1
	s_or_b64 exec, exec, s[14:15]
	s_barrier
	ds_write_b8 v44, v52 offset:8448
	ds_write_b8 v44, v10 offset:8449
	;; [unrolled: 1-line block ×4, first 2 shown]
	; wave barrier
	ds_read_u8 v10, v46 offset:8448
	ds_read_u8 v9, v47 offset:8448
	;; [unrolled: 1-line block ×3, first 2 shown]
	v_lshl_add_u64 v[6:7], v[0:1], 0, s[28:29]
	s_and_saveexec_b64 s[14:15], s[6:7]
	s_xor_b64 s[6:7], exec, s[14:15]
	s_cbranch_execnz .LBB96_74
; %bb.71:                               ;   in Loop: Header=BB96_16 Depth=1
	s_or_b64 exec, exec, s[6:7]
	s_and_saveexec_b64 s[6:7], s[8:9]
	s_cbranch_execnz .LBB96_75
.LBB96_72:                              ;   in Loop: Header=BB96_16 Depth=1
	s_or_b64 exec, exec, s[6:7]
	s_and_saveexec_b64 s[6:7], s[10:11]
	s_cbranch_execnz .LBB96_76
.LBB96_73:                              ;   in Loop: Header=BB96_16 Depth=1
	s_or_b64 exec, exec, s[6:7]
	s_and_saveexec_b64 s[6:7], s[12:13]
	s_cbranch_execz .LBB96_15
	s_branch .LBB96_77
.LBB96_74:                              ;   in Loop: Header=BB96_16 Depth=1
	ds_read_u8 v11, v45 offset:8448
	s_waitcnt lgkmcnt(0)
	global_store_byte v[6:7], v11, off
	s_or_b64 exec, exec, s[6:7]
	s_and_saveexec_b64 s[6:7], s[8:9]
	s_cbranch_execz .LBB96_72
.LBB96_75:                              ;   in Loop: Header=BB96_16 Depth=1
	s_waitcnt lgkmcnt(2)
	global_store_byte v[6:7], v10, off offset:64
	s_or_b64 exec, exec, s[6:7]
	s_and_saveexec_b64 s[6:7], s[10:11]
	s_cbranch_execz .LBB96_73
.LBB96_76:                              ;   in Loop: Header=BB96_16 Depth=1
	s_waitcnt lgkmcnt(1)
	global_store_byte v[6:7], v9, off offset:128
	s_or_b64 exec, exec, s[6:7]
	s_and_saveexec_b64 s[6:7], s[12:13]
	s_cbranch_execz .LBB96_15
.LBB96_77:                              ;   in Loop: Header=BB96_16 Depth=1
	s_waitcnt lgkmcnt(0)
	global_store_byte v[6:7], v8, off offset:192
	s_branch .LBB96_15
.LBB96_78:
	s_endpgm
	.section	.rodata,"a",@progbits
	.p2align	6, 0x0
	.amdhsa_kernel _Z18kQuantizeBlockwiseI6__halfLi4096ELi4ELi0ELi0EEvPfPT_S1_PhS1_ii
		.amdhsa_group_segment_fixed_size 13764
		.amdhsa_private_segment_fixed_size 0
		.amdhsa_kernarg_size 304
		.amdhsa_user_sgpr_count 2
		.amdhsa_user_sgpr_dispatch_ptr 0
		.amdhsa_user_sgpr_queue_ptr 0
		.amdhsa_user_sgpr_kernarg_segment_ptr 1
		.amdhsa_user_sgpr_dispatch_id 0
		.amdhsa_user_sgpr_kernarg_preload_length 0
		.amdhsa_user_sgpr_kernarg_preload_offset 0
		.amdhsa_user_sgpr_private_segment_size 0
		.amdhsa_uses_dynamic_stack 0
		.amdhsa_enable_private_segment 0
		.amdhsa_system_sgpr_workgroup_id_x 1
		.amdhsa_system_sgpr_workgroup_id_y 0
		.amdhsa_system_sgpr_workgroup_id_z 0
		.amdhsa_system_sgpr_workgroup_info 0
		.amdhsa_system_vgpr_workitem_id 0
		.amdhsa_next_free_vgpr 66
		.amdhsa_next_free_sgpr 36
		.amdhsa_accum_offset 68
		.amdhsa_reserve_vcc 1
		.amdhsa_float_round_mode_32 0
		.amdhsa_float_round_mode_16_64 0
		.amdhsa_float_denorm_mode_32 3
		.amdhsa_float_denorm_mode_16_64 3
		.amdhsa_dx10_clamp 1
		.amdhsa_ieee_mode 1
		.amdhsa_fp16_overflow 0
		.amdhsa_tg_split 0
		.amdhsa_exception_fp_ieee_invalid_op 0
		.amdhsa_exception_fp_denorm_src 0
		.amdhsa_exception_fp_ieee_div_zero 0
		.amdhsa_exception_fp_ieee_overflow 0
		.amdhsa_exception_fp_ieee_underflow 0
		.amdhsa_exception_fp_ieee_inexact 0
		.amdhsa_exception_int_div_zero 0
	.end_amdhsa_kernel
	.section	.text._Z18kQuantizeBlockwiseI6__halfLi4096ELi4ELi0ELi0EEvPfPT_S1_PhS1_ii,"axG",@progbits,_Z18kQuantizeBlockwiseI6__halfLi4096ELi4ELi0ELi0EEvPfPT_S1_PhS1_ii,comdat
.Lfunc_end96:
	.size	_Z18kQuantizeBlockwiseI6__halfLi4096ELi4ELi0ELi0EEvPfPT_S1_PhS1_ii, .Lfunc_end96-_Z18kQuantizeBlockwiseI6__halfLi4096ELi4ELi0ELi0EEvPfPT_S1_PhS1_ii
                                        ; -- End function
	.section	.AMDGPU.csdata,"",@progbits
; Kernel info:
; codeLenInByte = 4932
; NumSgprs: 42
; NumVgprs: 66
; NumAgprs: 0
; TotalNumVgprs: 66
; ScratchSize: 0
; MemoryBound: 0
; FloatMode: 240
; IeeeMode: 1
; LDSByteSize: 13764 bytes/workgroup (compile time only)
; SGPRBlocks: 5
; VGPRBlocks: 8
; NumSGPRsForWavesPerEU: 42
; NumVGPRsForWavesPerEU: 66
; AccumOffset: 68
; Occupancy: 7
; WaveLimiterHint : 0
; COMPUTE_PGM_RSRC2:SCRATCH_EN: 0
; COMPUTE_PGM_RSRC2:USER_SGPR: 2
; COMPUTE_PGM_RSRC2:TRAP_HANDLER: 0
; COMPUTE_PGM_RSRC2:TGID_X_EN: 1
; COMPUTE_PGM_RSRC2:TGID_Y_EN: 0
; COMPUTE_PGM_RSRC2:TGID_Z_EN: 0
; COMPUTE_PGM_RSRC2:TIDIG_COMP_CNT: 0
; COMPUTE_PGM_RSRC3_GFX90A:ACCUM_OFFSET: 16
; COMPUTE_PGM_RSRC3_GFX90A:TG_SPLIT: 0
	.section	.text._Z18kQuantizeBlockwiseI6__halfLi4096ELi4ELi1ELi0EEvPfPT_S1_PhS1_ii,"axG",@progbits,_Z18kQuantizeBlockwiseI6__halfLi4096ELi4ELi1ELi0EEvPfPT_S1_PhS1_ii,comdat
